;; amdgpu-corpus repo=ROCm/rocFFT kind=compiled arch=gfx906 opt=O3
	.text
	.amdgcn_target "amdgcn-amd-amdhsa--gfx906"
	.amdhsa_code_object_version 6
	.protected	fft_rtc_back_len728_factors_13_7_8_wgs_104_tpt_104_halfLds_dp_op_CI_CI_sbrr_dirReg ; -- Begin function fft_rtc_back_len728_factors_13_7_8_wgs_104_tpt_104_halfLds_dp_op_CI_CI_sbrr_dirReg
	.globl	fft_rtc_back_len728_factors_13_7_8_wgs_104_tpt_104_halfLds_dp_op_CI_CI_sbrr_dirReg
	.p2align	8
	.type	fft_rtc_back_len728_factors_13_7_8_wgs_104_tpt_104_halfLds_dp_op_CI_CI_sbrr_dirReg,@function
fft_rtc_back_len728_factors_13_7_8_wgs_104_tpt_104_halfLds_dp_op_CI_CI_sbrr_dirReg: ; @fft_rtc_back_len728_factors_13_7_8_wgs_104_tpt_104_halfLds_dp_op_CI_CI_sbrr_dirReg
; %bb.0:
	s_load_dwordx4 s[16:19], s[4:5], 0x18
	s_load_dwordx4 s[12:15], s[4:5], 0x0
	;; [unrolled: 1-line block ×3, first 2 shown]
	v_mul_u32_u24_e32 v1, 0x277, v0
	v_add_u32_sdwa v5, s6, v1 dst_sel:DWORD dst_unused:UNUSED_PAD src0_sel:DWORD src1_sel:WORD_1
	s_waitcnt lgkmcnt(0)
	s_load_dwordx2 s[22:23], s[16:17], 0x0
	s_load_dwordx2 s[20:21], s[18:19], 0x0
	v_cmp_lt_u64_e64 s[0:1], s[14:15], 2
	v_mov_b32_e32 v3, 0
	v_mov_b32_e32 v1, 0
	;; [unrolled: 1-line block ×3, first 2 shown]
	s_and_b64 vcc, exec, s[0:1]
	v_mov_b32_e32 v2, 0
	s_cbranch_vccnz .LBB0_8
; %bb.1:
	s_load_dwordx2 s[0:1], s[4:5], 0x10
	s_add_u32 s2, s18, 8
	s_addc_u32 s3, s19, 0
	s_add_u32 s6, s16, 8
	v_mov_b32_e32 v1, 0
	s_addc_u32 s7, s17, 0
	v_mov_b32_e32 v2, 0
	s_waitcnt lgkmcnt(0)
	s_add_u32 s24, s0, 8
	v_mov_b32_e32 v71, v2
	s_addc_u32 s25, s1, 0
	s_mov_b64 s[26:27], 1
	v_mov_b32_e32 v70, v1
.LBB0_2:                                ; =>This Inner Loop Header: Depth=1
	s_load_dwordx2 s[28:29], s[24:25], 0x0
                                        ; implicit-def: $vgpr72_vgpr73
	s_waitcnt lgkmcnt(0)
	v_or_b32_e32 v4, s29, v6
	v_cmp_ne_u64_e32 vcc, 0, v[3:4]
	s_and_saveexec_b64 s[0:1], vcc
	s_xor_b64 s[30:31], exec, s[0:1]
	s_cbranch_execz .LBB0_4
; %bb.3:                                ;   in Loop: Header=BB0_2 Depth=1
	v_cvt_f32_u32_e32 v4, s28
	v_cvt_f32_u32_e32 v7, s29
	s_sub_u32 s0, 0, s28
	s_subb_u32 s1, 0, s29
	v_mac_f32_e32 v4, 0x4f800000, v7
	v_rcp_f32_e32 v4, v4
	v_mul_f32_e32 v4, 0x5f7ffffc, v4
	v_mul_f32_e32 v7, 0x2f800000, v4
	v_trunc_f32_e32 v7, v7
	v_mac_f32_e32 v4, 0xcf800000, v7
	v_cvt_u32_f32_e32 v7, v7
	v_cvt_u32_f32_e32 v4, v4
	v_mul_lo_u32 v8, s0, v7
	v_mul_hi_u32 v9, s0, v4
	v_mul_lo_u32 v11, s1, v4
	v_mul_lo_u32 v10, s0, v4
	v_add_u32_e32 v8, v9, v8
	v_add_u32_e32 v8, v8, v11
	v_mul_hi_u32 v9, v4, v10
	v_mul_lo_u32 v11, v4, v8
	v_mul_hi_u32 v13, v4, v8
	v_mul_hi_u32 v12, v7, v10
	v_mul_lo_u32 v10, v7, v10
	v_mul_hi_u32 v14, v7, v8
	v_add_co_u32_e32 v9, vcc, v9, v11
	v_addc_co_u32_e32 v11, vcc, 0, v13, vcc
	v_mul_lo_u32 v8, v7, v8
	v_add_co_u32_e32 v9, vcc, v9, v10
	v_addc_co_u32_e32 v9, vcc, v11, v12, vcc
	v_addc_co_u32_e32 v10, vcc, 0, v14, vcc
	v_add_co_u32_e32 v8, vcc, v9, v8
	v_addc_co_u32_e32 v9, vcc, 0, v10, vcc
	v_add_co_u32_e32 v4, vcc, v4, v8
	v_addc_co_u32_e32 v7, vcc, v7, v9, vcc
	v_mul_lo_u32 v8, s0, v7
	v_mul_hi_u32 v9, s0, v4
	v_mul_lo_u32 v10, s1, v4
	v_mul_lo_u32 v11, s0, v4
	v_add_u32_e32 v8, v9, v8
	v_add_u32_e32 v8, v8, v10
	v_mul_lo_u32 v12, v4, v8
	v_mul_hi_u32 v13, v4, v11
	v_mul_hi_u32 v14, v4, v8
	;; [unrolled: 1-line block ×3, first 2 shown]
	v_mul_lo_u32 v11, v7, v11
	v_mul_hi_u32 v9, v7, v8
	v_add_co_u32_e32 v12, vcc, v13, v12
	v_addc_co_u32_e32 v13, vcc, 0, v14, vcc
	v_mul_lo_u32 v8, v7, v8
	v_add_co_u32_e32 v11, vcc, v12, v11
	v_addc_co_u32_e32 v10, vcc, v13, v10, vcc
	v_addc_co_u32_e32 v9, vcc, 0, v9, vcc
	v_add_co_u32_e32 v8, vcc, v10, v8
	v_addc_co_u32_e32 v9, vcc, 0, v9, vcc
	v_add_co_u32_e32 v4, vcc, v4, v8
	v_addc_co_u32_e32 v9, vcc, v7, v9, vcc
	v_mad_u64_u32 v[7:8], s[0:1], v5, v9, 0
	v_mul_hi_u32 v10, v5, v4
	v_add_co_u32_e32 v11, vcc, v10, v7
	v_addc_co_u32_e32 v12, vcc, 0, v8, vcc
	v_mad_u64_u32 v[7:8], s[0:1], v6, v4, 0
	v_mad_u64_u32 v[9:10], s[0:1], v6, v9, 0
	v_add_co_u32_e32 v4, vcc, v11, v7
	v_addc_co_u32_e32 v4, vcc, v12, v8, vcc
	v_addc_co_u32_e32 v7, vcc, 0, v10, vcc
	v_add_co_u32_e32 v4, vcc, v4, v9
	v_addc_co_u32_e32 v9, vcc, 0, v7, vcc
	v_mul_lo_u32 v10, s29, v4
	v_mul_lo_u32 v11, s28, v9
	v_mad_u64_u32 v[7:8], s[0:1], s28, v4, 0
	v_add3_u32 v8, v8, v11, v10
	v_sub_u32_e32 v10, v6, v8
	v_mov_b32_e32 v11, s29
	v_sub_co_u32_e32 v7, vcc, v5, v7
	v_subb_co_u32_e64 v10, s[0:1], v10, v11, vcc
	v_subrev_co_u32_e64 v11, s[0:1], s28, v7
	v_subbrev_co_u32_e64 v10, s[0:1], 0, v10, s[0:1]
	v_cmp_le_u32_e64 s[0:1], s29, v10
	v_cndmask_b32_e64 v12, 0, -1, s[0:1]
	v_cmp_le_u32_e64 s[0:1], s28, v11
	v_cndmask_b32_e64 v11, 0, -1, s[0:1]
	v_cmp_eq_u32_e64 s[0:1], s29, v10
	v_cndmask_b32_e64 v10, v12, v11, s[0:1]
	v_add_co_u32_e64 v11, s[0:1], 2, v4
	v_addc_co_u32_e64 v12, s[0:1], 0, v9, s[0:1]
	v_add_co_u32_e64 v13, s[0:1], 1, v4
	v_addc_co_u32_e64 v14, s[0:1], 0, v9, s[0:1]
	v_subb_co_u32_e32 v8, vcc, v6, v8, vcc
	v_cmp_ne_u32_e64 s[0:1], 0, v10
	v_cmp_le_u32_e32 vcc, s29, v8
	v_cndmask_b32_e64 v10, v14, v12, s[0:1]
	v_cndmask_b32_e64 v12, 0, -1, vcc
	v_cmp_le_u32_e32 vcc, s28, v7
	v_cndmask_b32_e64 v7, 0, -1, vcc
	v_cmp_eq_u32_e32 vcc, s29, v8
	v_cndmask_b32_e32 v7, v12, v7, vcc
	v_cmp_ne_u32_e32 vcc, 0, v7
	v_cndmask_b32_e64 v7, v13, v11, s[0:1]
	v_cndmask_b32_e32 v73, v9, v10, vcc
	v_cndmask_b32_e32 v72, v4, v7, vcc
.LBB0_4:                                ;   in Loop: Header=BB0_2 Depth=1
	s_andn2_saveexec_b64 s[0:1], s[30:31]
	s_cbranch_execz .LBB0_6
; %bb.5:                                ;   in Loop: Header=BB0_2 Depth=1
	v_cvt_f32_u32_e32 v4, s28
	s_sub_i32 s30, 0, s28
	v_mov_b32_e32 v73, v3
	v_rcp_iflag_f32_e32 v4, v4
	v_mul_f32_e32 v4, 0x4f7ffffe, v4
	v_cvt_u32_f32_e32 v4, v4
	v_mul_lo_u32 v7, s30, v4
	v_mul_hi_u32 v7, v4, v7
	v_add_u32_e32 v4, v4, v7
	v_mul_hi_u32 v4, v5, v4
	v_mul_lo_u32 v7, v4, s28
	v_add_u32_e32 v8, 1, v4
	v_sub_u32_e32 v7, v5, v7
	v_subrev_u32_e32 v9, s28, v7
	v_cmp_le_u32_e32 vcc, s28, v7
	v_cndmask_b32_e32 v7, v7, v9, vcc
	v_cndmask_b32_e32 v4, v4, v8, vcc
	v_add_u32_e32 v8, 1, v4
	v_cmp_le_u32_e32 vcc, s28, v7
	v_cndmask_b32_e32 v72, v4, v8, vcc
.LBB0_6:                                ;   in Loop: Header=BB0_2 Depth=1
	s_or_b64 exec, exec, s[0:1]
	v_mul_lo_u32 v4, v73, s28
	v_mul_lo_u32 v9, v72, s29
	v_mad_u64_u32 v[7:8], s[0:1], v72, s28, 0
	s_load_dwordx2 s[0:1], s[6:7], 0x0
	s_load_dwordx2 s[28:29], s[2:3], 0x0
	v_add3_u32 v4, v8, v9, v4
	v_sub_co_u32_e32 v5, vcc, v5, v7
	v_subb_co_u32_e32 v4, vcc, v6, v4, vcc
	s_waitcnt lgkmcnt(0)
	v_mul_lo_u32 v6, s0, v4
	v_mul_lo_u32 v7, s1, v5
	v_mad_u64_u32 v[1:2], s[0:1], s0, v5, v[1:2]
	v_mul_lo_u32 v4, s28, v4
	v_mul_lo_u32 v8, s29, v5
	v_mad_u64_u32 v[70:71], s[0:1], s28, v5, v[70:71]
	s_add_u32 s26, s26, 1
	s_addc_u32 s27, s27, 0
	s_add_u32 s2, s2, 8
	v_add3_u32 v71, v8, v71, v4
	s_addc_u32 s3, s3, 0
	v_mov_b32_e32 v4, s14
	s_add_u32 s6, s6, 8
	v_mov_b32_e32 v5, s15
	s_addc_u32 s7, s7, 0
	v_cmp_ge_u64_e32 vcc, s[26:27], v[4:5]
	s_add_u32 s24, s24, 8
	v_add3_u32 v2, v7, v2, v6
	s_addc_u32 s25, s25, 0
	s_cbranch_vccnz .LBB0_9
; %bb.7:                                ;   in Loop: Header=BB0_2 Depth=1
	v_mov_b32_e32 v5, v72
	v_mov_b32_e32 v6, v73
	s_branch .LBB0_2
.LBB0_8:
	v_mov_b32_e32 v71, v2
	v_mov_b32_e32 v73, v6
	;; [unrolled: 1-line block ×4, first 2 shown]
.LBB0_9:
	s_load_dwordx2 s[0:1], s[4:5], 0x28
	s_mov_b32 s4, 0x2762763
	v_mul_hi_u32 v3, v0, s4
	s_lshl_b64 s[2:3], s[14:15], 3
	s_add_u32 s4, s18, s2
	s_waitcnt lgkmcnt(0)
	v_cmp_gt_u64_e32 vcc, s[0:1], v[72:73]
	v_mul_u32_u24_e32 v3, 0x68, v3
	v_sub_u32_e32 v94, v0, v3
	v_cmp_gt_u32_e64 s[0:1], 56, v94
	s_addc_u32 s5, s19, s3
	s_and_b64 s[14:15], vcc, s[0:1]
                                        ; implicit-def: $vgpr52_vgpr53
                                        ; implicit-def: $vgpr48_vgpr49
                                        ; implicit-def: $vgpr44_vgpr45
                                        ; implicit-def: $vgpr32_vgpr33
                                        ; implicit-def: $vgpr8_vgpr9
                                        ; implicit-def: $vgpr16_vgpr17
                                        ; implicit-def: $vgpr20_vgpr21
                                        ; implicit-def: $vgpr24_vgpr25
                                        ; implicit-def: $vgpr28_vgpr29
                                        ; implicit-def: $vgpr36_vgpr37
                                        ; implicit-def: $vgpr40_vgpr41
                                        ; implicit-def: $vgpr56_vgpr57
                                        ; implicit-def: $vgpr12_vgpr13
	s_and_saveexec_b64 s[6:7], s[14:15]
	s_cbranch_execz .LBB0_11
; %bb.10:
	s_add_u32 s2, s16, s2
	s_addc_u32 s3, s17, s3
	s_load_dwordx2 s[2:3], s[2:3], 0x0
	v_mad_u64_u32 v[3:4], s[14:15], s22, v94, 0
	v_add_u32_e32 v12, 0x118, v94
	v_add_u32_e32 v16, 0x188, v94
	s_waitcnt lgkmcnt(0)
	v_mul_lo_u32 v9, s3, v72
	v_mul_lo_u32 v10, s2, v73
	v_mad_u64_u32 v[5:6], s[2:3], s2, v72, 0
	v_mov_b32_e32 v0, v4
	v_mad_u64_u32 v[7:8], s[2:3], s23, v94, v[0:1]
	v_add3_u32 v6, v6, v10, v9
	v_lshlrev_b64 v[5:6], 4, v[5:6]
	v_mov_b32_e32 v4, v7
	v_mov_b32_e32 v0, s9
	v_add_co_u32_e64 v7, s[2:3], s8, v5
	v_add_u32_e32 v9, 56, v94
	v_addc_co_u32_e64 v8, s[2:3], v0, v6, s[2:3]
	v_mad_u64_u32 v[5:6], s[2:3], s22, v9, 0
	v_lshlrev_b64 v[0:1], 4, v[1:2]
	v_add_u32_e32 v10, 0xa8, v94
	v_add_co_u32_e64 v14, s[2:3], v7, v0
	v_mov_b32_e32 v2, v6
	v_addc_co_u32_e64 v15, s[2:3], v8, v1, s[2:3]
	v_lshlrev_b64 v[0:1], 4, v[3:4]
	v_mad_u64_u32 v[2:3], s[2:3], s23, v9, v[2:3]
	v_add_u32_e32 v7, 0x70, v94
	v_mad_u64_u32 v[3:4], s[2:3], s22, v7, 0
	v_add_co_u32_e64 v0, s[2:3], v14, v0
	v_mov_b32_e32 v6, v2
	v_mov_b32_e32 v2, v4
	v_addc_co_u32_e64 v1, s[2:3], v15, v1, s[2:3]
	v_mad_u64_u32 v[7:8], s[2:3], s23, v7, v[2:3]
	v_mad_u64_u32 v[8:9], s[2:3], s22, v10, 0
	v_lshlrev_b64 v[5:6], 4, v[5:6]
	v_mov_b32_e32 v4, v7
	v_add_co_u32_e64 v58, s[2:3], v14, v5
	v_lshlrev_b64 v[2:3], 4, v[3:4]
	v_mov_b32_e32 v4, v9
	v_addc_co_u32_e64 v59, s[2:3], v15, v6, s[2:3]
	v_mad_u64_u32 v[4:5], s[2:3], s23, v10, v[4:5]
	v_add_u32_e32 v10, 0xe0, v94
	v_mad_u64_u32 v[5:6], s[2:3], s22, v10, 0
	v_add_co_u32_e64 v2, s[2:3], v14, v2
	v_mov_b32_e32 v9, v4
	v_mov_b32_e32 v4, v6
	v_addc_co_u32_e64 v3, s[2:3], v15, v3, s[2:3]
	v_lshlrev_b64 v[7:8], 4, v[8:9]
	v_mad_u64_u32 v[9:10], s[2:3], s23, v10, v[4:5]
	v_mad_u64_u32 v[10:11], s[2:3], s22, v12, 0
	v_mov_b32_e32 v6, v9
	v_add_co_u32_e64 v60, s[2:3], v14, v7
	v_lshlrev_b64 v[4:5], 4, v[5:6]
	v_mov_b32_e32 v6, v11
	v_addc_co_u32_e64 v61, s[2:3], v15, v8, s[2:3]
	v_mad_u64_u32 v[6:7], s[2:3], s23, v12, v[6:7]
	v_add_u32_e32 v12, 0x150, v94
	v_mad_u64_u32 v[7:8], s[2:3], s22, v12, 0
	v_add_co_u32_e64 v4, s[2:3], v14, v4
	v_mov_b32_e32 v11, v6
	v_mov_b32_e32 v6, v8
	v_addc_co_u32_e64 v5, s[2:3], v15, v5, s[2:3]
	v_lshlrev_b64 v[9:10], 4, v[10:11]
	v_mad_u64_u32 v[11:12], s[2:3], s23, v12, v[6:7]
	v_mad_u64_u32 v[12:13], s[2:3], s22, v16, 0
	v_mov_b32_e32 v8, v11
	v_add_co_u32_e64 v62, s[2:3], v14, v9
	v_lshlrev_b64 v[6:7], 4, v[7:8]
	v_mov_b32_e32 v8, v13
	v_addc_co_u32_e64 v63, s[2:3], v15, v10, s[2:3]
	v_mad_u64_u32 v[8:9], s[2:3], s23, v16, v[8:9]
	v_or_b32_e32 v11, 0x1c0, v94
	v_mad_u64_u32 v[9:10], s[2:3], s22, v11, 0
	v_add_co_u32_e64 v64, s[2:3], v14, v6
	v_mov_b32_e32 v13, v8
	v_mov_b32_e32 v8, v10
	v_addc_co_u32_e64 v65, s[2:3], v15, v7, s[2:3]
	v_lshlrev_b64 v[6:7], 4, v[12:13]
	v_mad_u64_u32 v[10:11], s[2:3], s23, v11, v[8:9]
	v_add_u32_e32 v13, 0x1f8, v94
	v_mad_u64_u32 v[11:12], s[2:3], s22, v13, 0
	v_add_co_u32_e64 v66, s[2:3], v14, v6
	v_mov_b32_e32 v8, v12
	v_addc_co_u32_e64 v67, s[2:3], v15, v7, s[2:3]
	v_lshlrev_b64 v[6:7], 4, v[9:10]
	v_mad_u64_u32 v[8:9], s[2:3], s23, v13, v[8:9]
	v_add_u32_e32 v13, 0x230, v94
	v_mad_u64_u32 v[9:10], s[2:3], s22, v13, 0
	v_add_co_u32_e64 v68, s[2:3], v14, v6
	v_mov_b32_e32 v12, v8
	v_mov_b32_e32 v8, v10
	v_addc_co_u32_e64 v69, s[2:3], v15, v7, s[2:3]
	v_lshlrev_b64 v[6:7], 4, v[11:12]
	v_mad_u64_u32 v[10:11], s[2:3], s23, v13, v[8:9]
	v_add_u32_e32 v13, 0x268, v94
	v_mad_u64_u32 v[11:12], s[2:3], s22, v13, 0
	v_add_co_u32_e64 v74, s[2:3], v14, v6
	v_mov_b32_e32 v8, v12
	v_addc_co_u32_e64 v75, s[2:3], v15, v7, s[2:3]
	v_lshlrev_b64 v[6:7], 4, v[9:10]
	v_mad_u64_u32 v[8:9], s[2:3], s23, v13, v[8:9]
	v_add_u32_e32 v13, 0x2a0, v94
	v_mad_u64_u32 v[9:10], s[2:3], s22, v13, 0
	v_add_co_u32_e64 v76, s[2:3], v14, v6
	v_mov_b32_e32 v12, v8
	v_mov_b32_e32 v8, v10
	v_addc_co_u32_e64 v77, s[2:3], v15, v7, s[2:3]
	v_lshlrev_b64 v[6:7], 4, v[11:12]
	v_mad_u64_u32 v[10:11], s[2:3], s23, v13, v[8:9]
	v_add_co_u32_e64 v78, s[2:3], v14, v6
	v_addc_co_u32_e64 v79, s[2:3], v15, v7, s[2:3]
	v_lshlrev_b64 v[6:7], 4, v[9:10]
	v_add_co_u32_e64 v80, s[2:3], v14, v6
	v_addc_co_u32_e64 v81, s[2:3], v15, v7, s[2:3]
	global_load_dwordx4 v[10:13], v[0:1], off
	global_load_dwordx4 v[50:53], v[58:59], off
	;; [unrolled: 1-line block ×13, first 2 shown]
.LBB0_11:
	s_or_b64 exec, exec, s[6:7]
	s_waitcnt vmcnt(0)
	v_add_f64 v[0:1], v[52:53], -v[8:9]
	s_mov_b32 s14, 0x4bc48dbf
	s_mov_b32 s15, 0xbfcea1e5
	v_add_f64 v[58:59], v[50:51], v[6:7]
	v_add_f64 v[4:5], v[56:57], -v[16:17]
	s_mov_b32 s2, 0x93053d00
	s_mov_b32 s16, 0x4267c47c
	;; [unrolled: 1-line block ×3, first 2 shown]
	v_mul_f64 v[82:83], v[0:1], s[14:15]
	s_mov_b32 s17, 0x3fddbe06
	v_add_f64 v[62:63], v[14:15], v[54:55]
	v_add_f64 v[60:61], v[48:49], -v[20:21]
	v_mul_f64 v[88:89], v[4:5], s[16:17]
	s_mov_b32 s6, 0xe00740e9
	s_mov_b32 s22, 0x24c2f84
	;; [unrolled: 1-line block ×3, first 2 shown]
	v_fma_f64 v[2:3], v[58:59], s[2:3], -v[82:83]
	s_mov_b32 s23, 0xbfe5384d
	v_add_f64 v[66:67], v[46:47], v[18:19]
	v_add_f64 v[64:65], v[44:45], -v[24:25]
	v_mul_f64 v[90:91], v[60:61], s[22:23]
	v_fma_f64 v[76:77], v[62:63], s[6:7], -v[88:89]
	s_mov_b32 s8, 0xd0032e0c
	s_mov_b32 s26, 0x42a4c3d2
	v_add_f64 v[2:3], v[2:3], v[10:11]
	s_mov_b32 s9, 0xbfe7f3cc
	s_mov_b32 s27, 0x3fea55e2
	v_add_f64 v[74:75], v[42:43], v[22:23]
	v_add_f64 v[68:69], v[40:41], -v[28:29]
	v_mul_f64 v[84:85], v[64:65], s[26:27]
	v_fma_f64 v[80:81], v[66:67], s[8:9], -v[90:91]
	s_mov_b32 s18, 0x1ea71119
	v_add_f64 v[2:3], v[76:77], v[2:3]
	s_mov_b32 s30, 0x2ef20147
	s_mov_b32 s19, 0x3fe22d96
	;; [unrolled: 1-line block ×3, first 2 shown]
	v_add_f64 v[78:79], v[26:27], v[38:39]
	v_mul_f64 v[86:87], v[68:69], s[30:31]
	v_fma_f64 v[92:93], v[74:75], s[18:19], -v[84:85]
	v_add_f64 v[76:77], v[32:33], -v[36:37]
	v_add_f64 v[2:3], v[80:81], v[2:3]
	s_mov_b32 s24, 0xb2365da1
	s_mov_b32 s34, 0x66966769
	;; [unrolled: 1-line block ×4, first 2 shown]
	v_add_f64 v[80:81], v[30:31], v[34:35]
	v_fma_f64 v[95:96], v[78:79], s[24:25], -v[86:87]
	s_mov_b32 s28, 0xebaa3ed8
	v_add_f64 v[2:3], v[92:93], v[2:3]
	v_mul_f64 v[92:93], v[76:77], s[34:35]
	s_mov_b32 s29, 0x3fbedb7d
	v_add_f64 v[2:3], v[95:96], v[2:3]
	v_fma_f64 v[95:96], v[80:81], s[28:29], -v[92:93]
	v_add_f64 v[2:3], v[95:96], v[2:3]
	s_and_saveexec_b64 s[36:37], s[0:1]
	s_cbranch_execz .LBB0_13
; %bb.12:
	v_mul_f64 v[95:96], v[58:59], s[2:3]
	v_mul_f64 v[97:98], v[62:63], s[6:7]
	;; [unrolled: 1-line block ×5, first 2 shown]
	s_mov_b32 s43, 0x3fe5384d
	s_mov_b32 s42, s22
	v_mul_f64 v[103:104], v[78:79], s[24:25]
	v_add_f64 v[82:83], v[82:83], v[95:96]
	v_add_f64 v[88:89], v[88:89], v[97:98]
	;; [unrolled: 1-line block ×3, first 2 shown]
	v_mul_f64 v[105:106], v[80:81], s[28:29]
	v_mul_f64 v[97:98], v[62:63], s[28:29]
	;; [unrolled: 1-line block ×3, first 2 shown]
	v_add_f64 v[84:85], v[84:85], v[101:102]
	v_fma_f64 v[101:102], v[0:1], s[22:23], v[113:114]
	v_add_f64 v[82:83], v[82:83], v[10:11]
	s_mov_b32 s41, 0x3fedeba7
	s_mov_b32 s40, s30
	;; [unrolled: 1-line block ×4, first 2 shown]
	v_mul_f64 v[111:112], v[66:67], s[18:19]
	v_mul_f64 v[115:116], v[62:63], s[8:9]
	v_add_f64 v[92:93], v[92:93], v[105:106]
	v_add_f64 v[82:83], v[88:89], v[82:83]
	v_fma_f64 v[88:89], v[0:1], s[42:43], v[113:114]
	v_add_f64 v[86:87], v[86:87], v[103:104]
	v_fma_f64 v[105:106], v[0:1], s[40:41], v[117:118]
	s_mov_b32 s47, 0xbfea55e2
	s_mov_b32 s46, s26
	v_mul_f64 v[109:110], v[74:75], s[2:3]
	v_mul_f64 v[99:100], v[66:67], s[6:7]
	v_add_f64 v[82:83], v[90:91], v[82:83]
	v_fma_f64 v[90:91], v[4:5], s[44:45], v[97:98]
	v_add_f64 v[88:89], v[88:89], v[10:11]
	v_fma_f64 v[103:104], v[60:61], s[26:27], v[111:112]
	v_fma_f64 v[113:114], v[4:5], s[22:23], v[115:116]
	v_add_f64 v[105:106], v[105:106], v[10:11]
	s_mov_b32 s39, 0xbfddbe06
	s_mov_b32 s38, s16
	v_add_f64 v[82:83], v[84:85], v[82:83]
	v_fma_f64 v[84:85], v[4:5], s[34:35], v[97:98]
	v_add_f64 v[97:98], v[101:102], v[10:11]
	v_add_f64 v[88:89], v[90:91], v[88:89]
	s_mov_b32 s49, 0x3fcea1e5
	s_mov_b32 s48, s14
	v_mul_f64 v[95:96], v[78:79], s[6:7]
	v_fma_f64 v[101:102], v[64:65], s[14:15], v[109:110]
	v_add_f64 v[82:83], v[86:87], v[82:83]
	v_fma_f64 v[86:87], v[60:61], s[46:47], v[111:112]
	v_add_f64 v[84:85], v[84:85], v[97:98]
	v_add_f64 v[88:89], v[103:104], v[88:89]
	v_mul_f64 v[97:98], v[74:75], s[28:29]
	v_fma_f64 v[103:104], v[60:61], s[38:39], v[99:100]
	v_add_f64 v[105:106], v[113:114], v[105:106]
	v_fma_f64 v[109:110], v[64:65], s[48:49], v[109:110]
	v_mul_f64 v[107:108], v[80:81], s[24:25]
	v_mul_f64 v[111:112], v[78:79], s[2:3]
	v_add_f64 v[84:85], v[86:87], v[84:85]
	v_fma_f64 v[86:87], v[68:69], s[38:39], v[95:96]
	v_fma_f64 v[113:114], v[0:1], s[30:31], v[117:118]
	;; [unrolled: 1-line block ×3, first 2 shown]
	v_add_f64 v[103:104], v[103:104], v[105:106]
	v_add_f64 v[88:89], v[101:102], v[88:89]
	v_fma_f64 v[95:96], v[68:69], s[16:17], v[95:96]
	v_fma_f64 v[90:91], v[76:77], s[40:41], v[107:108]
	v_add_f64 v[84:85], v[109:110], v[84:85]
	v_mul_f64 v[101:102], v[80:81], s[18:19]
	v_fma_f64 v[105:106], v[4:5], s[42:43], v[115:116]
	v_add_f64 v[109:110], v[113:114], v[10:11]
	v_fma_f64 v[113:114], v[68:69], s[14:15], v[111:112]
	v_add_f64 v[103:104], v[117:118], v[103:104]
	v_add_f64 v[86:87], v[86:87], v[88:89]
	v_fma_f64 v[88:89], v[76:77], s[30:31], v[107:108]
	v_add_f64 v[84:85], v[95:96], v[84:85]
	v_fma_f64 v[95:96], v[60:61], s[16:17], v[99:100]
	v_mul_f64 v[99:100], v[58:59], s[28:29]
	v_add_f64 v[105:106], v[105:106], v[109:110]
	v_fma_f64 v[107:108], v[76:77], s[46:47], v[101:102]
	v_add_f64 v[103:104], v[113:114], v[103:104]
	v_add_f64 v[82:83], v[92:93], v[82:83]
	;; [unrolled: 1-line block ×3, first 2 shown]
	v_mul_f64 v[90:91], v[62:63], s[2:3]
	v_fma_f64 v[92:93], v[64:65], s[44:45], v[97:98]
	v_fma_f64 v[97:98], v[0:1], s[34:35], v[99:100]
	v_add_f64 v[95:96], v[95:96], v[105:106]
	v_add_f64 v[84:85], v[88:89], v[84:85]
	;; [unrolled: 1-line block ×3, first 2 shown]
	v_mul_f64 v[103:104], v[66:67], s[24:25]
	v_fma_f64 v[105:106], v[68:69], s[48:49], v[111:112]
	v_fma_f64 v[107:108], v[4:5], s[48:49], v[90:91]
	;; [unrolled: 1-line block ×3, first 2 shown]
	v_add_f64 v[97:98], v[97:98], v[10:11]
	v_add_f64 v[111:112], v[50:51], v[10:11]
	v_add_f64 v[92:93], v[92:93], v[95:96]
	v_fma_f64 v[95:96], v[76:77], s[26:27], v[101:102]
	v_mul_f64 v[101:102], v[74:75], s[6:7]
	v_fma_f64 v[109:110], v[60:61], s[30:31], v[103:104]
	v_fma_f64 v[90:91], v[4:5], s[14:15], v[90:91]
	v_add_f64 v[99:100], v[99:100], v[10:11]
	v_add_f64 v[97:98], v[107:108], v[97:98]
	v_mul_f64 v[107:108], v[58:59], s[18:19]
	v_add_f64 v[111:112], v[54:55], v[111:112]
	v_add_f64 v[92:93], v[105:106], v[92:93]
	v_mul_f64 v[105:106], v[78:79], s[18:19]
	v_fma_f64 v[113:114], v[64:65], s[38:39], v[101:102]
	v_fma_f64 v[103:104], v[60:61], s[40:41], v[103:104]
	v_add_f64 v[90:91], v[90:91], v[99:100]
	v_add_f64 v[97:98], v[109:110], v[97:98]
	v_mul_f64 v[109:110], v[62:63], s[24:25]
	v_fma_f64 v[115:116], v[0:1], s[26:27], v[107:108]
	v_add_f64 v[111:112], v[46:47], v[111:112]
	v_fma_f64 v[117:118], v[68:69], s[26:27], v[105:106]
	v_mul_f64 v[58:59], v[58:59], s[6:7]
	v_fma_f64 v[101:102], v[64:65], s[16:17], v[101:102]
	v_add_f64 v[90:91], v[103:104], v[90:91]
	v_add_f64 v[97:98], v[113:114], v[97:98]
	v_mul_f64 v[103:104], v[66:67], s[2:3]
	v_fma_f64 v[113:114], v[4:5], s[40:41], v[109:110]
	v_add_f64 v[115:116], v[115:116], v[10:11]
	v_add_f64 v[111:112], v[42:43], v[111:112]
	v_mul_f64 v[62:63], v[62:63], s[18:19]
	v_fma_f64 v[107:108], v[0:1], s[46:47], v[107:108]
	v_fma_f64 v[105:106], v[68:69], s[46:47], v[105:106]
	v_add_f64 v[97:98], v[117:118], v[97:98]
	v_fma_f64 v[117:118], v[60:61], s[48:49], v[103:104]
	v_add_f64 v[90:91], v[101:102], v[90:91]
	v_add_f64 v[113:114], v[113:114], v[115:116]
	v_add_f64 v[111:112], v[38:39], v[111:112]
	v_mul_f64 v[66:67], v[66:67], s[28:29]
	v_fma_f64 v[109:110], v[4:5], s[30:31], v[109:110]
	v_add_f64 v[107:108], v[107:108], v[10:11]
	v_fma_f64 v[103:104], v[60:61], s[14:15], v[103:104]
	v_mul_f64 v[101:102], v[78:79], s[28:29]
	v_add_f64 v[90:91], v[105:106], v[90:91]
	v_add_f64 v[113:114], v[117:118], v[113:114]
	v_fma_f64 v[117:118], v[0:1], s[38:39], v[58:59]
	v_add_f64 v[111:112], v[30:31], v[111:112]
	v_fma_f64 v[0:1], v[0:1], s[16:17], v[58:59]
	v_fma_f64 v[58:59], v[4:5], s[46:47], v[62:63]
	;; [unrolled: 1-line block ×3, first 2 shown]
	v_mul_f64 v[105:106], v[74:75], s[8:9]
	v_mul_f64 v[74:75], v[74:75], s[24:25]
	v_add_f64 v[107:108], v[109:110], v[107:108]
	v_add_f64 v[117:118], v[117:118], v[10:11]
	;; [unrolled: 1-line block ×4, first 2 shown]
	v_fma_f64 v[10:11], v[60:61], s[44:45], v[66:67]
	v_fma_f64 v[60:61], v[60:61], s[34:35], v[66:67]
	v_mul_f64 v[78:79], v[78:79], s[8:9]
	v_fma_f64 v[123:124], v[64:65], s[22:23], v[105:106]
	v_fma_f64 v[105:106], v[64:65], s[42:43], v[105:106]
	v_add_f64 v[58:59], v[58:59], v[117:118]
	v_add_f64 v[62:63], v[26:27], v[111:112]
	;; [unrolled: 1-line block ×3, first 2 shown]
	v_fma_f64 v[4:5], v[64:65], s[30:31], v[74:75]
	v_fma_f64 v[64:65], v[64:65], s[40:41], v[74:75]
	v_mul_f64 v[99:100], v[80:81], s[8:9]
	v_mul_f64 v[115:116], v[80:81], s[6:7]
	;; [unrolled: 1-line block ×3, first 2 shown]
	v_add_f64 v[10:11], v[10:11], v[58:59]
	v_add_f64 v[58:59], v[22:23], v[62:63]
	;; [unrolled: 1-line block ×4, first 2 shown]
	v_fma_f64 v[60:61], v[68:69], s[22:23], v[78:79]
	v_fma_f64 v[66:67], v[68:69], s[34:35], v[101:102]
	;; [unrolled: 1-line block ×4, first 2 shown]
	v_add_f64 v[4:5], v[4:5], v[10:11]
	v_add_f64 v[10:11], v[18:19], v[58:59]
	;; [unrolled: 1-line block ×5, first 2 shown]
	v_fma_f64 v[64:65], v[76:77], s[14:15], v[80:81]
	v_fma_f64 v[119:120], v[76:77], s[42:43], v[99:100]
	v_fma_f64 v[99:100], v[76:77], s[22:23], v[99:100]
	v_add_f64 v[4:5], v[60:61], v[4:5]
	v_add_f64 v[10:11], v[14:15], v[10:11]
	v_fma_f64 v[74:75], v[76:77], s[16:17], v[115:116]
	v_add_f64 v[58:59], v[66:67], v[58:59]
	v_fma_f64 v[60:61], v[76:77], s[38:39], v[115:116]
	;; [unrolled: 2-line block ×3, first 2 shown]
	v_add_f64 v[0:1], v[68:69], v[0:1]
	v_add_f64 v[4:5], v[64:65], v[4:5]
	;; [unrolled: 1-line block ×9, first 2 shown]
	s_movk_i32 s33, 0x68
	v_mad_u32_u24 v62, v94, s33, 0
	ds_write2_b64 v62, v[10:11], v[4:5] offset1:1
	ds_write2_b64 v62, v[58:59], v[68:69] offset0:2 offset1:3
	ds_write2_b64 v62, v[64:65], v[84:85] offset0:4 offset1:5
	;; [unrolled: 1-line block ×5, first 2 shown]
	ds_write_b64 v62, v[0:1] offset:96
.LBB0_13:
	s_or_b64 exec, exec, s[36:37]
	v_add_f64 v[86:87], v[50:51], -v[6:7]
	v_add_f64 v[80:81], v[52:53], v[8:9]
	v_add_f64 v[84:85], v[54:55], -v[14:15]
	v_add_f64 v[76:77], v[16:17], v[56:57]
	;; [unrolled: 2-line block ×4, first 2 shown]
	v_mul_f64 v[82:83], v[86:87], s[14:15]
	v_add_f64 v[26:27], v[38:39], -v[26:27]
	v_mul_f64 v[78:79], v[84:85], s[16:17]
	v_add_f64 v[22:23], v[28:29], v[40:41]
	v_mul_f64 v[54:55], v[74:75], s[22:23]
	v_add_f64 v[14:15], v[30:31], -v[34:35]
	v_mul_f64 v[38:39], v[46:47], s[26:27]
	v_lshl_add_u32 v88, v94, 3, 0
	v_fma_f64 v[0:1], v[80:81], s[2:3], v[82:83]
	v_mul_f64 v[18:19], v[26:27], s[30:31]
	v_fma_f64 v[4:5], v[76:77], s[6:7], v[78:79]
	s_waitcnt lgkmcnt(0)
	v_fma_f64 v[6:7], v[50:51], s[8:9], v[54:55]
	v_mul_f64 v[10:11], v[14:15], s[34:35]
	v_fma_f64 v[30:31], v[42:43], s[18:19], v[38:39]
	s_barrier
	v_add_f64 v[0:1], v[0:1], v[12:13]
	ds_read2_b64 v[58:61], v88 offset1:104
	v_add_f64 v[0:1], v[0:1], v[4:5]
	v_add_f64 v[4:5], v[32:33], v[36:37]
	;; [unrolled: 1-line block ×3, first 2 shown]
	v_fma_f64 v[6:7], v[22:23], s[24:25], v[18:19]
	v_fma_f64 v[34:35], v[4:5], s[28:29], v[10:11]
	v_add_f64 v[0:1], v[30:31], v[0:1]
	v_add_u32_e32 v30, 0x400, v88
	v_add_u32_e32 v31, 0xc00, v88
	ds_read2_b64 v[66:69], v30 offset0:80 offset1:184
	v_add_f64 v[0:1], v[6:7], v[0:1]
	v_add_f64 v[6:7], v[34:35], v[0:1]
	ds_read2_b64 v[62:65], v31 offset0:32 offset1:136
	ds_read_b64 v[0:1], v88 offset:4992
	s_waitcnt lgkmcnt(0)
	s_barrier
	s_and_saveexec_b64 s[14:15], s[0:1]
	s_cbranch_execz .LBB0_15
; %bb.14:
	v_add_f64 v[34:35], v[52:53], v[12:13]
	v_mul_f64 v[95:96], v[42:43], s[18:19]
	v_mul_f64 v[97:98], v[22:23], s[24:25]
	s_mov_b32 s34, 0x66966769
	s_mov_b32 s18, 0x2ef20147
	;; [unrolled: 1-line block ×3, first 2 shown]
	v_mul_f64 v[89:90], v[76:77], s[6:7]
	s_mov_b32 s17, 0xbfddbe06
	v_add_f64 v[34:35], v[56:57], v[34:35]
	s_mov_b32 s16, 0x4267c47c
	s_mov_b32 s7, 0xbfea55e2
	;; [unrolled: 1-line block ×6, first 2 shown]
	v_mul_f64 v[52:53], v[80:81], s[2:3]
	v_add_f64 v[34:35], v[48:49], v[34:35]
	v_mul_f64 v[48:49], v[86:87], s[34:35]
	v_mul_f64 v[91:92], v[50:51], s[8:9]
	s_mov_b32 s0, 0xe00740e9
	s_mov_b32 s2, 0x1ea71119
	;; [unrolled: 1-line block ×5, first 2 shown]
	v_add_f64 v[34:35], v[44:45], v[34:35]
	v_mul_f64 v[44:45], v[86:87], s[6:7]
	s_mov_b32 s1, 0x3fec55a7
	s_mov_b32 s3, 0x3fe22d96
	;; [unrolled: 1-line block ×6, first 2 shown]
	v_add_f64 v[34:35], v[40:41], v[34:35]
	v_mul_f64 v[40:41], v[86:87], s[16:17]
	s_mov_b32 s38, s24
	v_mul_f64 v[99:100], v[84:85], s[6:7]
	v_mul_f64 v[101:102], v[84:85], s[18:19]
	v_add_f64 v[52:53], v[52:53], -v[82:83]
	v_fma_f64 v[105:106], v[80:81], s[2:3], -v[44:45]
	v_fma_f64 v[44:45], v[80:81], s[2:3], v[44:45]
	v_add_f64 v[32:33], v[32:33], v[34:35]
	v_mul_f64 v[34:35], v[86:87], s[18:19]
	v_mul_f64 v[86:87], v[86:87], s[24:25]
	v_fma_f64 v[82:83], v[80:81], s[0:1], -v[40:41]
	v_fma_f64 v[40:41], v[80:81], s[0:1], v[40:41]
	s_mov_b32 s30, 0x4bc48dbf
	s_mov_b32 s31, 0xbfcea1e5
	;; [unrolled: 1-line block ×3, first 2 shown]
	v_add_f64 v[32:33], v[36:37], v[32:33]
	v_mul_f64 v[36:37], v[84:85], s[38:39]
	v_fma_f64 v[107:108], v[80:81], s[8:9], -v[34:35]
	v_fma_f64 v[34:35], v[80:81], s[8:9], v[34:35]
	v_fma_f64 v[109:110], v[80:81], s[22:23], -v[86:87]
	s_mov_b32 s36, s34
	v_add_f64 v[40:41], v[40:41], v[12:13]
	v_add_f64 v[44:45], v[44:45], v[12:13]
	;; [unrolled: 1-line block ×3, first 2 shown]
	v_fma_f64 v[32:33], v[80:81], s[26:27], -v[48:49]
	v_fma_f64 v[48:49], v[80:81], s[26:27], v[48:49]
	v_fma_f64 v[80:81], v[80:81], s[22:23], v[86:87]
	v_fma_f64 v[86:87], v[76:77], s[2:3], -v[99:100]
	v_fma_f64 v[113:114], v[76:77], s[22:23], -v[36:37]
	v_fma_f64 v[36:37], v[76:77], s[22:23], v[36:37]
	v_add_f64 v[34:35], v[34:35], v[12:13]
	v_add_f64 v[24:25], v[24:25], v[28:29]
	v_fma_f64 v[28:29], v[76:77], s[2:3], v[99:100]
	v_fma_f64 v[99:100], v[76:77], s[8:9], -v[101:102]
	v_add_f64 v[32:33], v[32:33], v[12:13]
	v_add_f64 v[48:49], v[48:49], v[12:13]
	v_mul_f64 v[103:104], v[84:85], s[30:31]
	v_mul_f64 v[84:85], v[84:85], s[36:37]
	;; [unrolled: 1-line block ×3, first 2 shown]
	v_add_f64 v[20:21], v[20:21], v[24:25]
	v_add_f64 v[24:25], v[52:53], v[12:13]
	;; [unrolled: 1-line block ×5, first 2 shown]
	s_mov_b32 s28, 0x93053d00
	s_mov_b32 s29, 0xbfef11f4
	v_add_f64 v[28:29], v[40:41], v[28:29]
	v_add_f64 v[16:17], v[16:17], v[20:21]
	;; [unrolled: 1-line block ×4, first 2 shown]
	v_mul_f64 v[80:81], v[74:75], s[34:35]
	v_add_f64 v[52:53], v[52:53], v[86:87]
	v_add_f64 v[40:41], v[82:83], v[99:100]
	;; [unrolled: 1-line block ×3, first 2 shown]
	v_add_f64 v[36:37], v[89:90], -v[78:79]
	v_mul_f64 v[82:83], v[74:75], s[30:31]
	v_fma_f64 v[101:102], v[76:77], s[8:9], v[101:102]
	v_fma_f64 v[111:112], v[76:77], s[28:29], -v[103:104]
	v_fma_f64 v[78:79], v[50:51], s[26:27], -v[80:81]
	v_fma_f64 v[103:104], v[76:77], s[28:29], v[103:104]
	v_add_f64 v[8:9], v[8:9], v[16:17]
	v_fma_f64 v[16:17], v[76:77], s[26:27], -v[84:85]
	v_fma_f64 v[76:77], v[76:77], s[26:27], v[84:85]
	s_mov_b32 s41, 0x3fedeba7
	s_mov_b32 s40, s18
	v_add_f64 v[24:25], v[24:25], v[36:37]
	v_add_f64 v[36:37], v[78:79], v[52:53]
	v_fma_f64 v[52:53], v[50:51], s[28:29], -v[82:83]
	s_mov_b32 s17, 0x3fddbe06
	v_add_f64 v[44:45], v[44:45], v[101:102]
	v_add_f64 v[12:13], v[12:13], v[76:77]
	v_mul_f64 v[76:77], v[74:75], s[40:41]
	v_fma_f64 v[78:79], v[50:51], s[28:29], v[82:83]
	v_mul_f64 v[82:83], v[74:75], s[16:17]
	v_fma_f64 v[80:81], v[50:51], s[26:27], v[80:81]
	v_mul_f64 v[74:75], v[74:75], s[6:7]
	v_add_f64 v[40:41], v[52:53], v[40:41]
	v_mul_f64 v[52:53], v[46:47], s[18:19]
	v_add_f64 v[48:49], v[48:49], v[103:104]
	v_add_f64 v[20:21], v[20:21], v[113:114]
	v_fma_f64 v[84:85], v[50:51], s[8:9], -v[76:77]
	v_fma_f64 v[76:77], v[50:51], s[8:9], v[76:77]
	v_add_f64 v[44:45], v[78:79], v[44:45]
	v_fma_f64 v[78:79], v[50:51], s[0:1], -v[82:83]
	v_add_f64 v[28:29], v[80:81], v[28:29]
	v_fma_f64 v[80:81], v[50:51], s[0:1], v[82:83]
	v_fma_f64 v[82:83], v[50:51], s[2:3], -v[74:75]
	v_fma_f64 v[50:51], v[50:51], s[2:3], v[74:75]
	v_fma_f64 v[74:75], v[42:43], s[8:9], -v[52:53]
	v_add_f64 v[32:33], v[32:33], v[111:112]
	v_add_f64 v[48:49], v[76:77], v[48:49]
	v_add_f64 v[54:55], v[91:92], -v[54:55]
	v_add_f64 v[20:21], v[78:79], v[20:21]
	v_mul_f64 v[76:77], v[46:47], s[38:39]
	v_mul_f64 v[78:79], v[46:47], s[16:17]
	v_add_f64 v[12:13], v[50:51], v[12:13]
	v_add_f64 v[36:37], v[74:75], v[36:37]
	v_fma_f64 v[50:51], v[42:43], s[8:9], v[52:53]
	v_mul_f64 v[74:75], v[46:47], s[34:35]
	s_mov_b32 s35, 0x3fcea1e5
	s_mov_b32 s34, s30
	v_add_f64 v[32:33], v[84:85], v[32:33]
	v_add_f64 v[24:25], v[54:55], v[24:25]
	v_fma_f64 v[52:53], v[42:43], s[22:23], -v[76:77]
	v_fma_f64 v[54:55], v[42:43], s[22:23], v[76:77]
	v_fma_f64 v[76:77], v[42:43], s[0:1], -v[78:79]
	v_mul_f64 v[46:47], v[46:47], s[34:35]
	v_add_f64 v[28:29], v[50:51], v[28:29]
	v_fma_f64 v[50:51], v[42:43], s[0:1], v[78:79]
	v_add_f64 v[34:35], v[80:81], v[34:35]
	v_add_f64 v[38:39], v[95:96], -v[38:39]
	v_add_f64 v[40:41], v[52:53], v[40:41]
	v_fma_f64 v[52:53], v[42:43], s[26:27], -v[74:75]
	v_add_f64 v[44:45], v[54:55], v[44:45]
	v_add_f64 v[32:33], v[76:77], v[32:33]
	v_fma_f64 v[54:55], v[42:43], s[26:27], v[74:75]
	v_fma_f64 v[74:75], v[42:43], s[28:29], -v[46:47]
	v_mul_f64 v[76:77], v[26:27], s[24:25]
	v_fma_f64 v[42:43], v[42:43], s[28:29], v[46:47]
	v_add_f64 v[46:47], v[50:51], v[48:49]
	v_mul_f64 v[48:49], v[26:27], s[36:37]
	v_add_f64 v[20:21], v[52:53], v[20:21]
	v_add_f64 v[24:25], v[38:39], v[24:25]
	;; [unrolled: 1-line block ×4, first 2 shown]
	v_fma_f64 v[50:51], v[22:23], s[22:23], -v[76:77]
	v_add_f64 v[12:13], v[42:43], v[12:13]
	v_mul_f64 v[42:43], v[26:27], s[6:7]
	v_fma_f64 v[52:53], v[22:23], s[22:23], v[76:77]
	v_fma_f64 v[54:55], v[22:23], s[26:27], -v[48:49]
	v_fma_f64 v[38:39], v[22:23], s[26:27], v[48:49]
	v_mul_f64 v[48:49], v[26:27], s[34:35]
	v_mul_f64 v[26:27], v[26:27], s[16:17]
	v_add_f64 v[36:37], v[50:51], v[36:37]
	v_add_f64 v[16:17], v[82:83], v[16:17]
	v_fma_f64 v[50:51], v[22:23], s[2:3], -v[42:43]
	v_fma_f64 v[42:43], v[22:23], s[2:3], v[42:43]
	v_add_f64 v[28:29], v[52:53], v[28:29]
	v_add_f64 v[38:39], v[38:39], v[44:45]
	v_fma_f64 v[44:45], v[22:23], s[28:29], -v[48:49]
	v_fma_f64 v[48:49], v[22:23], s[28:29], v[48:49]
	v_fma_f64 v[52:53], v[22:23], s[0:1], -v[26:27]
	v_fma_f64 v[22:23], v[22:23], s[0:1], v[26:27]
	v_mul_f64 v[26:27], v[14:15], s[30:31]
	v_add_f64 v[42:43], v[42:43], v[46:47]
	v_mul_f64 v[46:47], v[14:15], s[16:17]
	s_mov_b32 s7, 0x3fea55e2
	v_add_f64 v[16:17], v[74:75], v[16:17]
	v_add_f64 v[34:35], v[48:49], v[34:35]
	v_mul_f64 v[48:49], v[14:15], s[24:25]
	v_add_f64 v[12:13], v[22:23], v[12:13]
	v_fma_f64 v[22:23], v[4:5], s[28:29], -v[26:27]
	v_add_f64 v[40:41], v[54:55], v[40:41]
	v_add_f64 v[32:33], v[50:51], v[32:33]
	;; [unrolled: 1-line block ×3, first 2 shown]
	v_add_f64 v[18:19], v[97:98], -v[18:19]
	v_fma_f64 v[26:27], v[4:5], s[28:29], v[26:27]
	v_fma_f64 v[44:45], v[4:5], s[0:1], -v[46:47]
	v_mul_f64 v[50:51], v[14:15], s[6:7]
	v_mul_f64 v[14:15], v[14:15], s[18:19]
	v_add_f64 v[22:23], v[22:23], v[36:37]
	v_fma_f64 v[36:37], v[4:5], s[22:23], -v[48:49]
	v_add_f64 v[16:17], v[52:53], v[16:17]
	v_add_f64 v[18:19], v[18:19], v[24:25]
	;; [unrolled: 1-line block ×4, first 2 shown]
	v_fma_f64 v[28:29], v[4:5], s[0:1], v[46:47]
	v_fma_f64 v[40:41], v[4:5], s[2:3], -v[50:51]
	v_fma_f64 v[46:47], v[4:5], s[8:9], -v[14:15]
	v_add_f64 v[10:11], v[56:57], -v[10:11]
	v_fma_f64 v[44:45], v[4:5], s[2:3], v[50:51]
	v_fma_f64 v[14:15], v[4:5], s[8:9], v[14:15]
	;; [unrolled: 1-line block ×3, first 2 shown]
	v_add_f64 v[32:33], v[36:37], v[32:33]
	v_add_f64 v[28:29], v[28:29], v[38:39]
	;; [unrolled: 1-line block ×8, first 2 shown]
	s_movk_i32 s0, 0x60
	v_mad_u32_u24 v14, v94, s0, v88
	ds_write2_b64 v14, v[8:9], v[22:23] offset1:1
	ds_write2_b64 v14, v[26:27], v[32:33] offset0:2 offset1:3
	ds_write2_b64 v14, v[20:21], v[16:17] offset0:4 offset1:5
	;; [unrolled: 1-line block ×5, first 2 shown]
	ds_write_b64 v14, v[24:25] offset:96
.LBB0_15:
	s_or_b64 exec, exec, s[14:15]
	s_movk_i32 s0, 0x4f
	v_mul_lo_u16_sdwa v4, v94, s0 dst_sel:DWORD dst_unused:UNUSED_PAD src0_sel:BYTE_0 src1_sel:DWORD
	v_lshrrev_b16_e32 v76, 10, v4
	v_mul_lo_u16_e32 v4, 13, v76
	v_sub_u16_e32 v77, v94, v4
	v_mov_b32_e32 v4, 6
	v_mul_u32_u24_sdwa v4, v77, v4 dst_sel:DWORD dst_unused:UNUSED_PAD src0_sel:BYTE_0 src1_sel:DWORD
	v_lshlrev_b32_e32 v4, 4, v4
	s_load_dwordx2 s[2:3], s[4:5], 0x0
	s_waitcnt lgkmcnt(0)
	s_barrier
	global_load_dwordx4 v[8:11], v4, s[12:13]
	global_load_dwordx4 v[12:15], v4, s[12:13] offset:16
	global_load_dwordx4 v[16:19], v4, s[12:13] offset:32
	;; [unrolled: 1-line block ×5, first 2 shown]
	ds_read2_b64 v[20:23], v88 offset1:104
	ds_read2_b64 v[32:35], v30 offset0:80 offset1:184
	ds_read2_b64 v[50:53], v31 offset0:32 offset1:136
	ds_read_b64 v[54:55], v88 offset:4992
	s_mov_b32 s6, 0x37e14327
	s_mov_b32 s4, 0x36b3c0b5
	;; [unrolled: 1-line block ×20, first 2 shown]
	s_movk_i32 s0, 0x5b
	v_cmp_gt_u32_e64 s[0:1], s0, v94
	s_waitcnt vmcnt(0) lgkmcnt(0)
	s_barrier
	v_mul_f64 v[4:5], v[22:23], v[10:11]
	v_mul_f64 v[10:11], v[60:61], v[10:11]
	;; [unrolled: 1-line block ×12, first 2 shown]
	v_fma_f64 v[4:5], v[60:61], v[8:9], v[4:5]
	v_fma_f64 v[26:27], v[22:23], v[8:9], -v[10:11]
	v_fma_f64 v[24:25], v[66:67], v[12:13], v[24:25]
	v_fma_f64 v[28:29], v[32:33], v[12:13], -v[14:15]
	v_fma_f64 v[22:23], v[0:1], v[42:43], v[40:41]
	v_fma_f64 v[32:33], v[64:65], v[46:47], v[74:75]
	;; [unrolled: 1-line block ×3, first 2 shown]
	v_fma_f64 v[34:35], v[34:35], v[16:17], -v[18:19]
	v_fma_f64 v[40:41], v[52:53], v[46:47], -v[48:49]
	v_fma_f64 v[36:37], v[62:63], v[38:39], v[36:37]
	v_fma_f64 v[38:39], v[50:51], v[38:39], -v[56:57]
	v_fma_f64 v[42:43], v[54:55], v[42:43], -v[44:45]
	v_add_f64 v[0:1], v[4:5], v[22:23]
	v_add_f64 v[10:11], v[24:25], v[32:33]
	v_add_f64 v[8:9], v[28:29], -v[40:41]
	v_add_f64 v[12:13], v[30:31], v[36:37]
	v_add_f64 v[14:15], v[38:39], -v[34:35]
	v_add_f64 v[16:17], v[26:27], -v[42:43]
	v_add_f64 v[18:19], v[10:11], v[0:1]
	v_add_f64 v[44:45], v[0:1], -v[12:13]
	v_add_f64 v[46:47], v[14:15], -v[8:9]
	;; [unrolled: 1-line block ×3, first 2 shown]
	v_add_f64 v[50:51], v[14:15], v[8:9]
	v_add_f64 v[18:19], v[12:13], v[18:19]
	v_add_f64 v[12:13], v[12:13], -v[10:11]
	v_add_f64 v[14:15], v[16:17], -v[14:15]
	;; [unrolled: 1-line block ×3, first 2 shown]
	v_mul_f64 v[44:45], v[44:45], s[6:7]
	v_mul_f64 v[46:47], v[46:47], s[16:17]
	;; [unrolled: 1-line block ×3, first 2 shown]
	v_add_f64 v[16:17], v[50:51], v[16:17]
	v_add_f64 v[8:9], v[58:59], v[18:19]
	v_mul_f64 v[10:11], v[12:13], s[4:5]
	v_fma_f64 v[12:13], v[12:13], s[4:5], v[44:45]
	v_fma_f64 v[50:51], v[14:15], s[24:25], v[46:47]
	v_fma_f64 v[46:47], v[48:49], s[8:9], -v[46:47]
	v_fma_f64 v[14:15], v[14:15], s[26:27], -v[52:53]
	v_fma_f64 v[18:19], v[18:19], s[14:15], v[8:9]
	v_fma_f64 v[44:45], v[0:1], s[22:23], -v[44:45]
	v_fma_f64 v[0:1], v[0:1], s[18:19], -v[10:11]
	v_mov_b32_e32 v10, 3
	v_lshlrev_b32_sdwa v53, v10, v77 dst_sel:DWORD dst_unused:UNUSED_PAD src0_sel:DWORD src1_sel:BYTE_0
	v_fma_f64 v[48:49], v[16:17], s[28:29], v[50:51]
	v_fma_f64 v[46:47], v[16:17], s[28:29], v[46:47]
	;; [unrolled: 1-line block ×3, first 2 shown]
	v_add_f64 v[50:51], v[12:13], v[18:19]
	v_add_f64 v[44:45], v[44:45], v[18:19]
	;; [unrolled: 1-line block ×3, first 2 shown]
	v_mul_u32_u24_e32 v52, 0x2d8, v76
	v_add_f64 v[10:11], v[48:49], v[50:51]
	v_add_f64 v[16:17], v[14:15], v[44:45]
	v_add_f64 v[18:19], v[0:1], -v[46:47]
	v_add_f64 v[12:13], v[46:47], v[0:1]
	v_add_f64 v[14:15], v[44:45], -v[14:15]
	v_add_f64 v[0:1], v[50:51], -v[48:49]
	v_add3_u32 v44, 0, v52, v53
	ds_write2_b64 v44, v[8:9], v[10:11] offset1:13
	ds_write2_b64 v44, v[16:17], v[18:19] offset0:26 offset1:39
	ds_write2_b64 v44, v[12:13], v[14:15] offset0:52 offset1:65
	ds_write_b64 v44, v[0:1] offset:624
	s_waitcnt lgkmcnt(0)
	s_barrier
	s_and_saveexec_b64 s[30:31], s[0:1]
	s_cbranch_execz .LBB0_17
; %bb.16:
	v_add_u32_e32 v0, 0x400, v88
	ds_read2_b64 v[16:19], v0 offset0:54 offset1:145
	v_add_u32_e32 v0, 0x800, v88
	ds_read2_b64 v[12:15], v0 offset0:108 offset1:199
	v_add_u32_e32 v0, 0x1000, v88
	ds_read2_b64 v[8:11], v88 offset1:91
	ds_read2_b64 v[0:3], v0 offset0:34 offset1:125
.LBB0_17:
	s_or_b64 exec, exec, s[30:31]
	v_add_f64 v[26:27], v[26:27], v[42:43]
	v_add_f64 v[28:29], v[28:29], v[40:41]
	v_add_f64 v[24:25], v[24:25], -v[32:33]
	v_add_f64 v[32:33], v[34:35], v[38:39]
	v_add_f64 v[30:31], v[36:37], -v[30:31]
	v_add_f64 v[4:5], v[4:5], -v[22:23]
	s_waitcnt lgkmcnt(0)
	s_barrier
	v_add_f64 v[22:23], v[28:29], v[26:27]
	v_add_f64 v[34:35], v[26:27], -v[32:33]
	v_add_f64 v[36:37], v[30:31], -v[24:25]
	;; [unrolled: 1-line block ×3, first 2 shown]
	v_add_f64 v[24:25], v[30:31], v[24:25]
	v_add_f64 v[30:31], v[4:5], -v[30:31]
	v_add_f64 v[26:27], v[28:29], -v[26:27]
	v_add_f64 v[22:23], v[32:33], v[22:23]
	v_add_f64 v[32:33], v[32:33], -v[28:29]
	v_mul_f64 v[34:35], v[34:35], s[6:7]
	v_mul_f64 v[36:37], v[36:37], s[16:17]
	;; [unrolled: 1-line block ×3, first 2 shown]
	v_add_f64 v[4:5], v[24:25], v[4:5]
	v_add_f64 v[20:21], v[20:21], v[22:23]
	v_mul_f64 v[28:29], v[32:33], s[4:5]
	v_fma_f64 v[24:25], v[32:33], s[4:5], v[34:35]
	v_fma_f64 v[32:33], v[30:31], s[24:25], v[36:37]
	v_fma_f64 v[36:37], v[38:39], s[8:9], -v[36:37]
	v_fma_f64 v[30:31], v[30:31], s[26:27], -v[40:41]
	;; [unrolled: 1-line block ×3, first 2 shown]
	v_fma_f64 v[22:23], v[22:23], s[14:15], v[20:21]
	v_fma_f64 v[26:27], v[26:27], s[18:19], -v[28:29]
	v_fma_f64 v[32:33], v[4:5], s[28:29], v[32:33]
	v_fma_f64 v[28:29], v[4:5], s[28:29], v[36:37]
	;; [unrolled: 1-line block ×3, first 2 shown]
	v_add_f64 v[36:37], v[24:25], v[22:23]
	v_add_f64 v[30:31], v[34:35], v[22:23]
	v_add_f64 v[34:35], v[26:27], v[22:23]
	v_add_f64 v[22:23], v[36:37], -v[32:33]
	v_add_f64 v[24:25], v[30:31], -v[4:5]
	v_add_f64 v[26:27], v[28:29], v[34:35]
	v_add_f64 v[28:29], v[34:35], -v[28:29]
	v_add_f64 v[30:31], v[4:5], v[30:31]
	v_add_f64 v[4:5], v[32:33], v[36:37]
	ds_write2_b64 v44, v[20:21], v[22:23] offset1:13
	ds_write2_b64 v44, v[24:25], v[26:27] offset0:26 offset1:39
	ds_write2_b64 v44, v[28:29], v[30:31] offset0:52 offset1:65
	ds_write_b64 v44, v[4:5] offset:624
	s_waitcnt lgkmcnt(0)
	s_barrier
	s_and_saveexec_b64 s[4:5], s[0:1]
	s_cbranch_execnz .LBB0_20
; %bb.18:
	s_or_b64 exec, exec, s[4:5]
	s_and_b64 s[0:1], vcc, s[0:1]
	s_and_saveexec_b64 s[4:5], s[0:1]
	s_cbranch_execnz .LBB0_21
.LBB0_19:
	s_endpgm
.LBB0_20:
	v_add_u32_e32 v4, 0x400, v88
	ds_read2_b64 v[24:27], v4 offset0:54 offset1:145
	v_add_u32_e32 v4, 0x800, v88
	ds_read2_b64 v[28:31], v4 offset0:108 offset1:199
	v_add_u32_e32 v4, 0x1000, v88
	ds_read2_b64 v[20:23], v88 offset1:91
	ds_read2_b64 v[4:7], v4 offset0:34 offset1:125
	s_or_b64 exec, exec, s[4:5]
	s_and_b64 s[0:1], vcc, s[0:1]
	s_and_saveexec_b64 s[4:5], s[0:1]
	s_cbranch_execz .LBB0_19
.LBB0_21:
	v_mul_u32_u24_e32 v32, 7, v94
	v_lshlrev_b32_e32 v60, 4, v32
	global_load_dwordx4 v[32:35], v60, s[12:13] offset:1296
	global_load_dwordx4 v[36:39], v60, s[12:13] offset:1264
	;; [unrolled: 1-line block ×7, first 2 shown]
	v_mul_lo_u32 v74, s3, v72
	v_mul_lo_u32 v73, s2, v73
	v_mad_u64_u32 v[60:61], s[0:1], s2, v72, 0
	v_mad_u64_u32 v[62:63], s[4:5], s20, v94, 0
	v_add_u32_e32 v75, 0x5b, v94
	v_lshlrev_b64 v[64:65], 4, v[70:71]
	v_add_u32_e32 v77, 0xb6, v94
	v_mad_u64_u32 v[66:67], s[4:5], s20, v75, 0
	v_mad_u64_u32 v[68:69], s[4:5], s20, v77, 0
	v_add3_u32 v61, v61, v73, v74
	v_mad_u64_u32 v[72:73], s[4:5], s21, v94, v[63:64]
	v_lshlrev_b64 v[60:61], 4, v[60:61]
	v_mov_b32_e32 v76, s11
	v_mov_b32_e32 v63, v67
	v_add_co_u32_e32 v60, vcc, s10, v60
	v_mov_b32_e32 v67, v69
	v_mad_u64_u32 v[73:74], s[4:5], s21, v75, v[63:64]
	v_addc_co_u32_e32 v61, vcc, v76, v61, vcc
	v_mad_u64_u32 v[74:75], s[4:5], s21, v77, v[67:68]
	v_add_co_u32_e32 v86, vcc, v60, v64
	v_mov_b32_e32 v63, v72
	v_addc_co_u32_e32 v87, vcc, v61, v65, vcc
	v_lshlrev_b64 v[60:61], 4, v[62:63]
	s_mov_b32 s0, 0x667f3bcd
	s_mov_b32 s1, 0x3fe6a09e
	;; [unrolled: 1-line block ×4, first 2 shown]
	v_add_u32_e32 v85, 0x111, v94
	v_mad_u64_u32 v[70:71], s[4:5], s20, v85, 0
	v_mov_b32_e32 v67, v73
	v_mov_b32_e32 v69, v74
	s_waitcnt vmcnt(6)
	v_mul_f64 v[62:63], v[12:13], v[34:35]
	s_waitcnt vmcnt(5) lgkmcnt(3)
	v_mul_f64 v[64:65], v[24:25], v[38:39]
	s_waitcnt vmcnt(4) lgkmcnt(0)
	v_mul_f64 v[75:76], v[4:5], v[42:43]
	s_waitcnt vmcnt(3)
	v_mul_f64 v[77:78], v[10:11], v[46:47]
	s_waitcnt vmcnt(2)
	;; [unrolled: 2-line block ×4, first 2 shown]
	v_mul_f64 v[83:84], v[6:7], v[58:59]
	v_mul_f64 v[46:47], v[22:23], v[46:47]
	;; [unrolled: 1-line block ×8, first 2 shown]
	v_fma_f64 v[28:29], v[28:29], v[32:33], -v[62:63]
	v_fma_f64 v[16:17], v[16:17], v[36:37], v[64:65]
	v_fma_f64 v[0:1], v[0:1], v[40:41], v[75:76]
	v_fma_f64 v[22:23], v[22:23], v[44:45], -v[77:78]
	v_fma_f64 v[30:31], v[30:31], v[48:49], -v[79:80]
	v_fma_f64 v[18:19], v[18:19], v[52:53], v[81:82]
	v_fma_f64 v[2:3], v[2:3], v[56:57], v[83:84]
	;; [unrolled: 1-line block ×4, first 2 shown]
	v_fma_f64 v[26:27], v[26:27], v[52:53], -v[54:55]
	v_fma_f64 v[6:7], v[6:7], v[56:57], -v[58:59]
	;; [unrolled: 1-line block ×4, first 2 shown]
	v_fma_f64 v[12:13], v[12:13], v[32:33], v[34:35]
	v_add_f64 v[28:29], v[20:21], -v[28:29]
	v_add_f64 v[0:1], v[16:17], -v[0:1]
	;; [unrolled: 1-line block ×8, first 2 shown]
	v_fma_f64 v[20:21], v[20:21], 2.0, -v[28:29]
	v_add_f64 v[36:37], v[28:29], -v[0:1]
	v_fma_f64 v[22:23], v[22:23], 2.0, -v[30:31]
	v_add_f64 v[38:39], v[30:31], -v[2:3]
	v_fma_f64 v[10:11], v[10:11], 2.0, -v[14:15]
	v_add_f64 v[40:41], v[14:15], v[6:7]
	v_fma_f64 v[6:7], v[26:27], 2.0, -v[6:7]
	v_add_f64 v[42:43], v[12:13], v[4:5]
	v_fma_f64 v[4:5], v[24:25], 2.0, -v[4:5]
	v_fma_f64 v[8:9], v[8:9], 2.0, -v[12:13]
	;; [unrolled: 1-line block ×8, first 2 shown]
	v_add_f64 v[28:29], v[20:21], -v[4:5]
	v_add_f64 v[12:13], v[22:23], -v[6:7]
	;; [unrolled: 1-line block ×4, first 2 shown]
	v_fma_f64 v[30:31], v[38:39], s[0:1], v[36:37]
	v_fma_f64 v[0:1], v[18:19], s[2:3], v[16:17]
	;; [unrolled: 1-line block ×4, first 2 shown]
	v_fma_f64 v[20:21], v[20:21], 2.0, -v[28:29]
	v_fma_f64 v[6:7], v[22:23], 2.0, -v[12:13]
	;; [unrolled: 1-line block ×4, first 2 shown]
	v_add_f64 v[12:13], v[44:45], v[12:13]
	v_fma_f64 v[2:3], v[14:15], s[2:3], v[0:1]
	v_add_f64 v[14:15], v[28:29], -v[26:27]
	v_fma_f64 v[0:1], v[18:19], s[0:1], v[4:5]
	v_fma_f64 v[10:11], v[40:41], s[2:3], v[30:31]
	v_add_f64 v[6:7], v[20:21], -v[6:7]
	v_lshlrev_b64 v[32:33], 4, v[66:67]
	v_add_f64 v[4:5], v[48:49], -v[8:9]
	v_fma_f64 v[8:9], v[38:39], s[0:1], v[46:47]
	v_fma_f64 v[18:19], v[16:17], 2.0, -v[2:3]
	v_fma_f64 v[30:31], v[28:29], 2.0, -v[14:15]
	v_fma_f64 v[16:17], v[24:25], 2.0, -v[0:1]
	v_fma_f64 v[28:29], v[44:45], 2.0, -v[12:13]
	v_fma_f64 v[22:23], v[20:21], 2.0, -v[6:7]
	v_add_co_u32_e32 v50, vcc, v86, v60
	v_fma_f64 v[20:21], v[48:49], 2.0, -v[4:5]
	v_addc_co_u32_e32 v51, vcc, v87, v61, vcc
	v_lshlrev_b64 v[34:35], 4, v[68:69]
	v_add_co_u32_e32 v32, vcc, v86, v32
	v_addc_co_u32_e32 v33, vcc, v87, v33, vcc
	global_store_dwordx4 v[50:51], v[20:23], off
	global_store_dwordx4 v[32:33], v[16:19], off
	v_add_u32_e32 v20, 0x16c, v94
	v_mad_u64_u32 v[16:17], s[0:1], s21, v85, v[71:72]
	v_add_co_u32_e32 v17, vcc, v86, v34
	v_addc_co_u32_e32 v18, vcc, v87, v35, vcc
	v_fma_f64 v[26:27], v[36:37], 2.0, -v[10:11]
	v_fma_f64 v[24:25], v[42:43], 2.0, -v[8:9]
	global_store_dwordx4 v[17:18], v[28:31], off
	v_mad_u64_u32 v[18:19], s[0:1], s20, v20, 0
	v_mov_b32_e32 v71, v16
	v_lshlrev_b64 v[16:17], 4, v[70:71]
	v_mad_u64_u32 v[19:20], s[0:1], s21, v20, v[19:20]
	v_add_co_u32_e32 v16, vcc, v86, v16
	v_addc_co_u32_e32 v17, vcc, v87, v17, vcc
	v_add_u32_e32 v22, 0x1c7, v94
	v_mad_u64_u32 v[20:21], s[0:1], s20, v22, 0
	global_store_dwordx4 v[16:17], v[24:27], off
	v_lshlrev_b64 v[16:17], 4, v[18:19]
	v_mov_b32_e32 v18, v21
	v_add_co_u32_e32 v16, vcc, v86, v16
	v_addc_co_u32_e32 v17, vcc, v87, v17, vcc
	global_store_dwordx4 v[16:17], v[4:7], off
	v_add_u32_e32 v16, 0x222, v94
	v_mad_u64_u32 v[18:19], s[0:1], s21, v22, v[18:19]
	v_mad_u64_u32 v[6:7], s[0:1], s20, v16, 0
	v_mov_b32_e32 v21, v18
	v_add_u32_e32 v19, 0x27d, v94
	v_mad_u64_u32 v[16:17], s[0:1], s21, v16, v[7:8]
	v_lshlrev_b64 v[4:5], 4, v[20:21]
	v_mad_u64_u32 v[17:18], s[0:1], s20, v19, 0
	v_add_co_u32_e32 v4, vcc, v86, v4
	v_addc_co_u32_e32 v5, vcc, v87, v5, vcc
	global_store_dwordx4 v[4:5], v[0:3], off
	v_mov_b32_e32 v7, v16
	v_mov_b32_e32 v2, v18
	v_mad_u64_u32 v[2:3], s[0:1], s21, v19, v[2:3]
	v_lshlrev_b64 v[0:1], 4, v[6:7]
	v_add_co_u32_e32 v0, vcc, v86, v0
	v_addc_co_u32_e32 v1, vcc, v87, v1, vcc
	v_mov_b32_e32 v18, v2
	global_store_dwordx4 v[0:1], v[12:15], off
	v_lshlrev_b64 v[0:1], 4, v[17:18]
	v_add_co_u32_e32 v0, vcc, v86, v0
	v_addc_co_u32_e32 v1, vcc, v87, v1, vcc
	global_store_dwordx4 v[0:1], v[8:11], off
	s_endpgm
	.section	.rodata,"a",@progbits
	.p2align	6, 0x0
	.amdhsa_kernel fft_rtc_back_len728_factors_13_7_8_wgs_104_tpt_104_halfLds_dp_op_CI_CI_sbrr_dirReg
		.amdhsa_group_segment_fixed_size 0
		.amdhsa_private_segment_fixed_size 0
		.amdhsa_kernarg_size 104
		.amdhsa_user_sgpr_count 6
		.amdhsa_user_sgpr_private_segment_buffer 1
		.amdhsa_user_sgpr_dispatch_ptr 0
		.amdhsa_user_sgpr_queue_ptr 0
		.amdhsa_user_sgpr_kernarg_segment_ptr 1
		.amdhsa_user_sgpr_dispatch_id 0
		.amdhsa_user_sgpr_flat_scratch_init 0
		.amdhsa_user_sgpr_private_segment_size 0
		.amdhsa_uses_dynamic_stack 0
		.amdhsa_system_sgpr_private_segment_wavefront_offset 0
		.amdhsa_system_sgpr_workgroup_id_x 1
		.amdhsa_system_sgpr_workgroup_id_y 0
		.amdhsa_system_sgpr_workgroup_id_z 0
		.amdhsa_system_sgpr_workgroup_info 0
		.amdhsa_system_vgpr_workitem_id 0
		.amdhsa_next_free_vgpr 125
		.amdhsa_next_free_sgpr 50
		.amdhsa_reserve_vcc 1
		.amdhsa_reserve_flat_scratch 0
		.amdhsa_float_round_mode_32 0
		.amdhsa_float_round_mode_16_64 0
		.amdhsa_float_denorm_mode_32 3
		.amdhsa_float_denorm_mode_16_64 3
		.amdhsa_dx10_clamp 1
		.amdhsa_ieee_mode 1
		.amdhsa_fp16_overflow 0
		.amdhsa_exception_fp_ieee_invalid_op 0
		.amdhsa_exception_fp_denorm_src 0
		.amdhsa_exception_fp_ieee_div_zero 0
		.amdhsa_exception_fp_ieee_overflow 0
		.amdhsa_exception_fp_ieee_underflow 0
		.amdhsa_exception_fp_ieee_inexact 0
		.amdhsa_exception_int_div_zero 0
	.end_amdhsa_kernel
	.text
.Lfunc_end0:
	.size	fft_rtc_back_len728_factors_13_7_8_wgs_104_tpt_104_halfLds_dp_op_CI_CI_sbrr_dirReg, .Lfunc_end0-fft_rtc_back_len728_factors_13_7_8_wgs_104_tpt_104_halfLds_dp_op_CI_CI_sbrr_dirReg
                                        ; -- End function
	.section	.AMDGPU.csdata,"",@progbits
; Kernel info:
; codeLenInByte = 8884
; NumSgprs: 54
; NumVgprs: 125
; ScratchSize: 0
; MemoryBound: 1
; FloatMode: 240
; IeeeMode: 1
; LDSByteSize: 0 bytes/workgroup (compile time only)
; SGPRBlocks: 6
; VGPRBlocks: 31
; NumSGPRsForWavesPerEU: 54
; NumVGPRsForWavesPerEU: 125
; Occupancy: 2
; WaveLimiterHint : 1
; COMPUTE_PGM_RSRC2:SCRATCH_EN: 0
; COMPUTE_PGM_RSRC2:USER_SGPR: 6
; COMPUTE_PGM_RSRC2:TRAP_HANDLER: 0
; COMPUTE_PGM_RSRC2:TGID_X_EN: 1
; COMPUTE_PGM_RSRC2:TGID_Y_EN: 0
; COMPUTE_PGM_RSRC2:TGID_Z_EN: 0
; COMPUTE_PGM_RSRC2:TIDIG_COMP_CNT: 0
	.type	__hip_cuid_a345b759fa3c44d0,@object ; @__hip_cuid_a345b759fa3c44d0
	.section	.bss,"aw",@nobits
	.globl	__hip_cuid_a345b759fa3c44d0
__hip_cuid_a345b759fa3c44d0:
	.byte	0                               ; 0x0
	.size	__hip_cuid_a345b759fa3c44d0, 1

	.ident	"AMD clang version 19.0.0git (https://github.com/RadeonOpenCompute/llvm-project roc-6.4.0 25133 c7fe45cf4b819c5991fe208aaa96edf142730f1d)"
	.section	".note.GNU-stack","",@progbits
	.addrsig
	.addrsig_sym __hip_cuid_a345b759fa3c44d0
	.amdgpu_metadata
---
amdhsa.kernels:
  - .args:
      - .actual_access:  read_only
        .address_space:  global
        .offset:         0
        .size:           8
        .value_kind:     global_buffer
      - .offset:         8
        .size:           8
        .value_kind:     by_value
      - .actual_access:  read_only
        .address_space:  global
        .offset:         16
        .size:           8
        .value_kind:     global_buffer
      - .actual_access:  read_only
        .address_space:  global
        .offset:         24
        .size:           8
        .value_kind:     global_buffer
      - .actual_access:  read_only
        .address_space:  global
        .offset:         32
        .size:           8
        .value_kind:     global_buffer
      - .offset:         40
        .size:           8
        .value_kind:     by_value
      - .actual_access:  read_only
        .address_space:  global
        .offset:         48
        .size:           8
        .value_kind:     global_buffer
      - .actual_access:  read_only
        .address_space:  global
        .offset:         56
        .size:           8
        .value_kind:     global_buffer
      - .offset:         64
        .size:           4
        .value_kind:     by_value
      - .actual_access:  read_only
        .address_space:  global
        .offset:         72
        .size:           8
        .value_kind:     global_buffer
      - .actual_access:  read_only
        .address_space:  global
        .offset:         80
        .size:           8
        .value_kind:     global_buffer
      - .actual_access:  read_only
        .address_space:  global
        .offset:         88
        .size:           8
        .value_kind:     global_buffer
      - .actual_access:  write_only
        .address_space:  global
        .offset:         96
        .size:           8
        .value_kind:     global_buffer
    .group_segment_fixed_size: 0
    .kernarg_segment_align: 8
    .kernarg_segment_size: 104
    .language:       OpenCL C
    .language_version:
      - 2
      - 0
    .max_flat_workgroup_size: 104
    .name:           fft_rtc_back_len728_factors_13_7_8_wgs_104_tpt_104_halfLds_dp_op_CI_CI_sbrr_dirReg
    .private_segment_fixed_size: 0
    .sgpr_count:     54
    .sgpr_spill_count: 0
    .symbol:         fft_rtc_back_len728_factors_13_7_8_wgs_104_tpt_104_halfLds_dp_op_CI_CI_sbrr_dirReg.kd
    .uniform_work_group_size: 1
    .uses_dynamic_stack: false
    .vgpr_count:     125
    .vgpr_spill_count: 0
    .wavefront_size: 64
amdhsa.target:   amdgcn-amd-amdhsa--gfx906
amdhsa.version:
  - 1
  - 2
...

	.end_amdgpu_metadata
